;; amdgpu-corpus repo=ROCm/rocFFT kind=compiled arch=gfx906 opt=O3
	.text
	.amdgcn_target "amdgcn-amd-amdhsa--gfx906"
	.amdhsa_code_object_version 6
	.protected	fft_rtc_fwd_len540_factors_3_10_6_3_wgs_216_tpt_54_halfLds_sp_op_CI_CI_sbrr_dirReg ; -- Begin function fft_rtc_fwd_len540_factors_3_10_6_3_wgs_216_tpt_54_halfLds_sp_op_CI_CI_sbrr_dirReg
	.globl	fft_rtc_fwd_len540_factors_3_10_6_3_wgs_216_tpt_54_halfLds_sp_op_CI_CI_sbrr_dirReg
	.p2align	8
	.type	fft_rtc_fwd_len540_factors_3_10_6_3_wgs_216_tpt_54_halfLds_sp_op_CI_CI_sbrr_dirReg,@function
fft_rtc_fwd_len540_factors_3_10_6_3_wgs_216_tpt_54_halfLds_sp_op_CI_CI_sbrr_dirReg: ; @fft_rtc_fwd_len540_factors_3_10_6_3_wgs_216_tpt_54_halfLds_sp_op_CI_CI_sbrr_dirReg
; %bb.0:
	s_load_dwordx4 s[16:19], s[4:5], 0x18
	s_load_dwordx4 s[8:11], s[4:5], 0x0
	;; [unrolled: 1-line block ×3, first 2 shown]
	v_mul_u32_u24_e32 v1, 0x4be, v0
	v_lshrrev_b32_e32 v30, 16, v1
	s_waitcnt lgkmcnt(0)
	s_load_dwordx2 s[2:3], s[16:17], 0x0
	s_load_dwordx2 s[20:21], s[18:19], 0x0
	v_cmp_lt_u64_e64 s[0:1], s[10:11], 2
	v_mov_b32_e32 v7, 0
	v_mov_b32_e32 v5, 0
	v_lshl_add_u32 v9, s6, 2, v30
	v_mov_b32_e32 v10, v7
	s_and_b64 vcc, exec, s[0:1]
	v_mov_b32_e32 v6, 0
	s_cbranch_vccnz .LBB0_8
; %bb.1:
	s_load_dwordx2 s[0:1], s[4:5], 0x10
	s_add_u32 s6, s18, 8
	s_addc_u32 s7, s19, 0
	s_add_u32 s22, s16, 8
	s_addc_u32 s23, s17, 0
	v_mov_b32_e32 v5, 0
	s_waitcnt lgkmcnt(0)
	s_add_u32 s24, s0, 8
	v_mov_b32_e32 v6, 0
	v_mov_b32_e32 v1, v5
	s_addc_u32 s25, s1, 0
	s_mov_b64 s[26:27], 1
	v_mov_b32_e32 v2, v6
.LBB0_2:                                ; =>This Inner Loop Header: Depth=1
	s_load_dwordx2 s[28:29], s[24:25], 0x0
                                        ; implicit-def: $vgpr3_vgpr4
	s_waitcnt lgkmcnt(0)
	v_or_b32_e32 v8, s29, v10
	v_cmp_ne_u64_e32 vcc, 0, v[7:8]
	s_and_saveexec_b64 s[0:1], vcc
	s_xor_b64 s[30:31], exec, s[0:1]
	s_cbranch_execz .LBB0_4
; %bb.3:                                ;   in Loop: Header=BB0_2 Depth=1
	v_cvt_f32_u32_e32 v3, s28
	v_cvt_f32_u32_e32 v4, s29
	s_sub_u32 s0, 0, s28
	s_subb_u32 s1, 0, s29
	v_mac_f32_e32 v3, 0x4f800000, v4
	v_rcp_f32_e32 v3, v3
	v_mul_f32_e32 v3, 0x5f7ffffc, v3
	v_mul_f32_e32 v4, 0x2f800000, v3
	v_trunc_f32_e32 v4, v4
	v_mac_f32_e32 v3, 0xcf800000, v4
	v_cvt_u32_f32_e32 v4, v4
	v_cvt_u32_f32_e32 v3, v3
	v_mul_lo_u32 v8, s0, v4
	v_mul_hi_u32 v11, s0, v3
	v_mul_lo_u32 v13, s1, v3
	v_mul_lo_u32 v12, s0, v3
	v_add_u32_e32 v8, v11, v8
	v_add_u32_e32 v8, v8, v13
	v_mul_hi_u32 v11, v3, v12
	v_mul_lo_u32 v13, v3, v8
	v_mul_hi_u32 v15, v3, v8
	v_mul_hi_u32 v14, v4, v12
	v_mul_lo_u32 v12, v4, v12
	v_mul_hi_u32 v16, v4, v8
	v_add_co_u32_e32 v11, vcc, v11, v13
	v_addc_co_u32_e32 v13, vcc, 0, v15, vcc
	v_mul_lo_u32 v8, v4, v8
	v_add_co_u32_e32 v11, vcc, v11, v12
	v_addc_co_u32_e32 v11, vcc, v13, v14, vcc
	v_addc_co_u32_e32 v12, vcc, 0, v16, vcc
	v_add_co_u32_e32 v8, vcc, v11, v8
	v_addc_co_u32_e32 v11, vcc, 0, v12, vcc
	v_add_co_u32_e32 v3, vcc, v3, v8
	v_addc_co_u32_e32 v4, vcc, v4, v11, vcc
	v_mul_lo_u32 v8, s0, v4
	v_mul_hi_u32 v11, s0, v3
	v_mul_lo_u32 v12, s1, v3
	v_mul_lo_u32 v13, s0, v3
	v_add_u32_e32 v8, v11, v8
	v_add_u32_e32 v8, v8, v12
	v_mul_lo_u32 v14, v3, v8
	v_mul_hi_u32 v15, v3, v13
	v_mul_hi_u32 v16, v3, v8
	;; [unrolled: 1-line block ×3, first 2 shown]
	v_mul_lo_u32 v13, v4, v13
	v_mul_hi_u32 v11, v4, v8
	v_add_co_u32_e32 v14, vcc, v15, v14
	v_addc_co_u32_e32 v15, vcc, 0, v16, vcc
	v_mul_lo_u32 v8, v4, v8
	v_add_co_u32_e32 v13, vcc, v14, v13
	v_addc_co_u32_e32 v12, vcc, v15, v12, vcc
	v_addc_co_u32_e32 v11, vcc, 0, v11, vcc
	v_add_co_u32_e32 v8, vcc, v12, v8
	v_addc_co_u32_e32 v11, vcc, 0, v11, vcc
	v_add_co_u32_e32 v8, vcc, v3, v8
	v_addc_co_u32_e32 v11, vcc, v4, v11, vcc
	v_mad_u64_u32 v[3:4], s[0:1], v9, v11, 0
	v_mul_hi_u32 v12, v9, v8
	v_add_co_u32_e32 v13, vcc, v12, v3
	v_addc_co_u32_e32 v14, vcc, 0, v4, vcc
	v_mad_u64_u32 v[3:4], s[0:1], v10, v8, 0
	v_mad_u64_u32 v[11:12], s[0:1], v10, v11, 0
	v_add_co_u32_e32 v3, vcc, v13, v3
	v_addc_co_u32_e32 v3, vcc, v14, v4, vcc
	v_addc_co_u32_e32 v4, vcc, 0, v12, vcc
	v_add_co_u32_e32 v8, vcc, v3, v11
	v_addc_co_u32_e32 v11, vcc, 0, v4, vcc
	v_mul_lo_u32 v12, s29, v8
	v_mul_lo_u32 v13, s28, v11
	v_mad_u64_u32 v[3:4], s[0:1], s28, v8, 0
	v_add3_u32 v4, v4, v13, v12
	v_sub_u32_e32 v12, v10, v4
	v_mov_b32_e32 v13, s29
	v_sub_co_u32_e32 v3, vcc, v9, v3
	v_subb_co_u32_e64 v12, s[0:1], v12, v13, vcc
	v_subrev_co_u32_e64 v13, s[0:1], s28, v3
	v_subbrev_co_u32_e64 v12, s[0:1], 0, v12, s[0:1]
	v_cmp_le_u32_e64 s[0:1], s29, v12
	v_cndmask_b32_e64 v14, 0, -1, s[0:1]
	v_cmp_le_u32_e64 s[0:1], s28, v13
	v_cndmask_b32_e64 v13, 0, -1, s[0:1]
	v_cmp_eq_u32_e64 s[0:1], s29, v12
	v_cndmask_b32_e64 v12, v14, v13, s[0:1]
	v_add_co_u32_e64 v13, s[0:1], 2, v8
	v_addc_co_u32_e64 v14, s[0:1], 0, v11, s[0:1]
	v_add_co_u32_e64 v15, s[0:1], 1, v8
	v_addc_co_u32_e64 v16, s[0:1], 0, v11, s[0:1]
	v_subb_co_u32_e32 v4, vcc, v10, v4, vcc
	v_cmp_ne_u32_e64 s[0:1], 0, v12
	v_cmp_le_u32_e32 vcc, s29, v4
	v_cndmask_b32_e64 v12, v16, v14, s[0:1]
	v_cndmask_b32_e64 v14, 0, -1, vcc
	v_cmp_le_u32_e32 vcc, s28, v3
	v_cndmask_b32_e64 v3, 0, -1, vcc
	v_cmp_eq_u32_e32 vcc, s29, v4
	v_cndmask_b32_e32 v3, v14, v3, vcc
	v_cmp_ne_u32_e32 vcc, 0, v3
	v_cndmask_b32_e64 v3, v15, v13, s[0:1]
	v_cndmask_b32_e32 v4, v11, v12, vcc
	v_cndmask_b32_e32 v3, v8, v3, vcc
.LBB0_4:                                ;   in Loop: Header=BB0_2 Depth=1
	s_andn2_saveexec_b64 s[0:1], s[30:31]
	s_cbranch_execz .LBB0_6
; %bb.5:                                ;   in Loop: Header=BB0_2 Depth=1
	v_cvt_f32_u32_e32 v3, s28
	s_sub_i32 s30, 0, s28
	v_rcp_iflag_f32_e32 v3, v3
	v_mul_f32_e32 v3, 0x4f7ffffe, v3
	v_cvt_u32_f32_e32 v3, v3
	v_mul_lo_u32 v4, s30, v3
	v_mul_hi_u32 v4, v3, v4
	v_add_u32_e32 v3, v3, v4
	v_mul_hi_u32 v3, v9, v3
	v_mul_lo_u32 v4, v3, s28
	v_add_u32_e32 v8, 1, v3
	v_sub_u32_e32 v4, v9, v4
	v_subrev_u32_e32 v11, s28, v4
	v_cmp_le_u32_e32 vcc, s28, v4
	v_cndmask_b32_e32 v4, v4, v11, vcc
	v_cndmask_b32_e32 v3, v3, v8, vcc
	v_add_u32_e32 v8, 1, v3
	v_cmp_le_u32_e32 vcc, s28, v4
	v_cndmask_b32_e32 v3, v3, v8, vcc
	v_mov_b32_e32 v4, v7
.LBB0_6:                                ;   in Loop: Header=BB0_2 Depth=1
	s_or_b64 exec, exec, s[0:1]
	v_mul_lo_u32 v8, v4, s28
	v_mul_lo_u32 v13, v3, s29
	v_mad_u64_u32 v[11:12], s[0:1], v3, s28, 0
	s_load_dwordx2 s[0:1], s[22:23], 0x0
	s_load_dwordx2 s[28:29], s[6:7], 0x0
	v_add3_u32 v8, v12, v13, v8
	v_sub_co_u32_e32 v9, vcc, v9, v11
	v_subb_co_u32_e32 v8, vcc, v10, v8, vcc
	s_waitcnt lgkmcnt(0)
	v_mul_lo_u32 v10, s0, v8
	v_mul_lo_u32 v11, s1, v9
	v_mad_u64_u32 v[5:6], s[0:1], s0, v9, v[5:6]
	v_mul_lo_u32 v8, s28, v8
	v_mul_lo_u32 v12, s29, v9
	v_mad_u64_u32 v[1:2], s[0:1], s28, v9, v[1:2]
	s_add_u32 s26, s26, 1
	s_addc_u32 s27, s27, 0
	s_add_u32 s6, s6, 8
	v_add3_u32 v2, v12, v2, v8
	s_addc_u32 s7, s7, 0
	v_mov_b32_e32 v8, s10
	s_add_u32 s22, s22, 8
	v_mov_b32_e32 v9, s11
	s_addc_u32 s23, s23, 0
	v_cmp_ge_u64_e32 vcc, s[26:27], v[8:9]
	s_add_u32 s24, s24, 8
	v_add3_u32 v6, v11, v6, v10
	s_addc_u32 s25, s25, 0
	s_cbranch_vccnz .LBB0_9
; %bb.7:                                ;   in Loop: Header=BB0_2 Depth=1
	v_mov_b32_e32 v10, v4
	v_mov_b32_e32 v9, v3
	s_branch .LBB0_2
.LBB0_8:
	v_mov_b32_e32 v1, v5
	v_mov_b32_e32 v3, v9
	;; [unrolled: 1-line block ×4, first 2 shown]
.LBB0_9:
	s_load_dwordx2 s[0:1], s[4:5], 0x28
	s_lshl_b64 s[10:11], s[10:11], 3
	s_add_u32 s6, s18, s10
	s_addc_u32 s7, s19, s11
                                        ; implicit-def: $vgpr32
                                        ; implicit-def: $vgpr33
                                        ; implicit-def: $vgpr34
	s_waitcnt lgkmcnt(0)
	v_cmp_gt_u64_e32 vcc, s[0:1], v[3:4]
	v_cmp_le_u64_e64 s[0:1], s[0:1], v[3:4]
	s_and_saveexec_b64 s[4:5], s[0:1]
	s_xor_b64 s[0:1], exec, s[4:5]
; %bb.10:
	s_mov_b32 s4, 0x4bda130
	v_mul_hi_u32 v5, v0, s4
	v_mul_u32_u24_e32 v5, 54, v5
	v_sub_u32_e32 v32, v0, v5
	v_add_u32_e32 v33, 54, v32
	v_add_u32_e32 v34, 0x6c, v32
                                        ; implicit-def: $vgpr0
                                        ; implicit-def: $vgpr5_vgpr6
; %bb.11:
	s_or_saveexec_b64 s[4:5], s[0:1]
	s_load_dwordx2 s[6:7], s[6:7], 0x0
                                        ; implicit-def: $vgpr25
                                        ; implicit-def: $vgpr23
                                        ; implicit-def: $vgpr21
                                        ; implicit-def: $vgpr13
                                        ; implicit-def: $vgpr11
                                        ; implicit-def: $vgpr9
                                        ; implicit-def: $vgpr15
                                        ; implicit-def: $vgpr17
                                        ; implicit-def: $vgpr7
                                        ; implicit-def: $vgpr29
                                        ; implicit-def: $vgpr27
                                        ; implicit-def: $vgpr19
	s_xor_b64 exec, exec, s[4:5]
	s_cbranch_execz .LBB0_15
; %bb.12:
	s_add_u32 s0, s16, s10
	s_mov_b32 s10, 0x4bda130
	v_mul_hi_u32 v7, v0, s10
	s_addc_u32 s1, s17, s11
	s_load_dwordx2 s[0:1], s[0:1], 0x0
	v_lshlrev_b64 v[5:6], 3, v[5:6]
	v_mul_u32_u24_e32 v7, 54, v7
	v_sub_u32_e32 v32, v0, v7
	v_mad_u64_u32 v[7:8], s[10:11], s2, v32, 0
	s_waitcnt lgkmcnt(0)
	v_mul_lo_u32 v13, s1, v3
	v_mul_lo_u32 v14, s0, v4
	v_mad_u64_u32 v[9:10], s[0:1], s0, v3, 0
	v_mov_b32_e32 v0, v8
	v_mad_u64_u32 v[11:12], s[0:1], s3, v32, v[0:1]
	v_add3_u32 v10, v10, v14, v13
	v_lshlrev_b64 v[9:10], 3, v[9:10]
	v_mov_b32_e32 v8, v11
	v_mov_b32_e32 v0, s13
	v_add_co_u32_e64 v11, s[0:1], s12, v9
	v_add_u32_e32 v13, 0xb4, v32
	v_addc_co_u32_e64 v12, s[0:1], v0, v10, s[0:1]
	v_mad_u64_u32 v[9:10], s[0:1], s2, v13, 0
	v_add_co_u32_e64 v0, s[0:1], v11, v5
	v_addc_co_u32_e64 v5, s[0:1], v12, v6, s[0:1]
	v_lshlrev_b64 v[6:7], 3, v[7:8]
	v_mov_b32_e32 v8, v10
	v_mad_u64_u32 v[10:11], s[0:1], s3, v13, v[8:9]
	v_add_u32_e32 v13, 0x168, v32
	v_mad_u64_u32 v[11:12], s[0:1], s2, v13, 0
	v_add_co_u32_e64 v20, s[0:1], v0, v6
	v_mov_b32_e32 v8, v12
	v_addc_co_u32_e64 v21, s[0:1], v5, v7, s[0:1]
	v_lshlrev_b64 v[6:7], 3, v[9:10]
	v_mad_u64_u32 v[8:9], s[0:1], s3, v13, v[8:9]
	v_add_u32_e32 v33, 54, v32
	v_mad_u64_u32 v[9:10], s[0:1], s2, v33, 0
	v_add_co_u32_e64 v22, s[0:1], v0, v6
	v_mov_b32_e32 v12, v8
	v_mov_b32_e32 v8, v10
	v_addc_co_u32_e64 v23, s[0:1], v5, v7, s[0:1]
	v_lshlrev_b64 v[6:7], 3, v[11:12]
	v_mad_u64_u32 v[10:11], s[0:1], s3, v33, v[8:9]
	v_add_u32_e32 v13, 0xea, v32
	v_mad_u64_u32 v[11:12], s[0:1], s2, v13, 0
	v_add_co_u32_e64 v24, s[0:1], v0, v6
	v_mov_b32_e32 v8, v12
	v_addc_co_u32_e64 v25, s[0:1], v5, v7, s[0:1]
	v_lshlrev_b64 v[6:7], 3, v[9:10]
	v_mad_u64_u32 v[8:9], s[0:1], s3, v13, v[8:9]
	v_add_u32_e32 v13, 0x19e, v32
	v_mad_u64_u32 v[9:10], s[0:1], s2, v13, 0
	v_add_co_u32_e64 v35, s[0:1], v0, v6
	v_mov_b32_e32 v12, v8
	v_mov_b32_e32 v8, v10
	v_addc_co_u32_e64 v36, s[0:1], v5, v7, s[0:1]
	v_lshlrev_b64 v[6:7], 3, v[11:12]
	;; [unrolled: 15-line block ×3, first 2 shown]
	v_mad_u64_u32 v[10:11], s[0:1], s3, v13, v[8:9]
	v_add_u32_e32 v13, 0x1d4, v32
	v_mad_u64_u32 v[11:12], s[0:1], s2, v13, 0
	v_add_co_u32_e64 v41, s[0:1], v0, v6
	v_mov_b32_e32 v8, v12
	v_addc_co_u32_e64 v42, s[0:1], v5, v7, s[0:1]
	v_lshlrev_b64 v[6:7], 3, v[9:10]
	v_mad_u64_u32 v[8:9], s[0:1], s3, v13, v[8:9]
	v_add_co_u32_e64 v43, s[0:1], v0, v6
	v_mov_b32_e32 v12, v8
	v_addc_co_u32_e64 v44, s[0:1], v5, v7, s[0:1]
	v_lshlrev_b64 v[6:7], 3, v[11:12]
	v_add_co_u32_e64 v45, s[0:1], v0, v6
	v_addc_co_u32_e64 v46, s[0:1], v5, v7, s[0:1]
	global_load_dwordx2 v[18:19], v[20:21], off
	global_load_dwordx2 v[26:27], v[22:23], off
	;; [unrolled: 1-line block ×9, first 2 shown]
	v_cmp_gt_u32_e64 s[0:1], 18, v32
                                        ; implicit-def: $vgpr20
                                        ; implicit-def: $vgpr22
                                        ; implicit-def: $vgpr24
	s_and_saveexec_b64 s[10:11], s[0:1]
	s_cbranch_execz .LBB0_14
; %bb.13:
	v_add_u32_e32 v24, 0xa2, v32
	v_add_u32_e32 v31, 0x156, v32
	v_mad_u64_u32 v[20:21], s[0:1], s2, v24, 0
	v_mad_u64_u32 v[22:23], s[0:1], s2, v31, 0
	;; [unrolled: 1-line block ×3, first 2 shown]
	v_mov_b32_e32 v21, v24
	v_mad_u64_u32 v[23:24], s[0:1], s3, v31, v[23:24]
	v_add_u32_e32 v31, 0x20a, v32
	v_mad_u64_u32 v[24:25], s[0:1], s2, v31, 0
	v_lshlrev_b64 v[20:21], 3, v[20:21]
	v_add_co_u32_e64 v35, s[0:1], v0, v20
	v_addc_co_u32_e64 v36, s[0:1], v5, v21, s[0:1]
	v_lshlrev_b64 v[20:21], 3, v[22:23]
	v_mov_b32_e32 v22, v25
	v_mad_u64_u32 v[22:23], s[0:1], s3, v31, v[22:23]
	v_add_co_u32_e64 v37, s[0:1], v0, v20
	v_mov_b32_e32 v25, v22
	v_addc_co_u32_e64 v38, s[0:1], v5, v21, s[0:1]
	v_lshlrev_b64 v[20:21], 3, v[24:25]
	v_add_co_u32_e64 v39, s[0:1], v0, v20
	v_addc_co_u32_e64 v40, s[0:1], v5, v21, s[0:1]
	global_load_dwordx2 v[20:21], v[35:36], off
	global_load_dwordx2 v[22:23], v[37:38], off
	;; [unrolled: 1-line block ×3, first 2 shown]
.LBB0_14:
	s_or_b64 exec, exec, s[10:11]
.LBB0_15:
	s_or_b64 exec, exec, s[4:5]
	v_and_b32_e32 v0, 3, v30
	s_waitcnt vmcnt(6)
	v_add_f32_e32 v5, v28, v26
	v_mul_u32_u24_e32 v30, 0x21c, v0
	v_add_f32_e32 v0, v26, v18
	v_fmac_f32_e32 v18, -0.5, v5
	v_sub_f32_e32 v5, v27, v29
	v_mov_b32_e32 v36, v18
	v_fmac_f32_e32 v36, 0x3f5db3d7, v5
	v_fmac_f32_e32 v18, 0xbf5db3d7, v5
	s_waitcnt vmcnt(4)
	v_add_f32_e32 v5, v16, v6
	s_waitcnt vmcnt(3)
	v_add_f32_e32 v37, v14, v5
	v_add_f32_e32 v5, v14, v16
	v_fmac_f32_e32 v6, -0.5, v5
	v_sub_f32_e32 v5, v17, v15
	v_mov_b32_e32 v38, v6
	v_fmac_f32_e32 v38, 0x3f5db3d7, v5
	v_fmac_f32_e32 v6, 0xbf5db3d7, v5
	s_waitcnt vmcnt(1)
	v_add_f32_e32 v5, v10, v8
	s_waitcnt vmcnt(0)
	v_add_f32_e32 v39, v12, v5
	v_add_f32_e32 v5, v12, v10
	v_mad_u32_u24 v31, v32, 12, 0
	v_lshlrev_b32_e32 v35, 2, v30
	v_add_f32_e32 v0, v28, v0
	v_fmac_f32_e32 v8, -0.5, v5
	v_add_u32_e32 v41, v31, v35
	v_mad_i32_i24 v5, v33, 12, 0
	ds_write2_b32 v41, v0, v36 offset1:1
	ds_write_b32 v41, v18 offset:8
	v_add_u32_e32 v0, v5, v35
	ds_write_b32 v0, v6 offset:8
	v_add_f32_e32 v6, v24, v22
	ds_write2_b32 v0, v37, v38 offset1:1
	v_sub_f32_e32 v36, v11, v13
	v_mov_b32_e32 v37, v8
	v_fma_f32 v40, -0.5, v6, v20
	v_fmac_f32_e32 v37, 0x3f5db3d7, v36
	v_mad_i32_i24 v18, v34, 12, 0
	v_fmac_f32_e32 v8, 0xbf5db3d7, v36
	v_sub_f32_e32 v36, v23, v25
	v_mov_b32_e32 v6, v40
	v_add_u32_e32 v45, v18, v35
	v_fmac_f32_e32 v6, 0x3f5db3d7, v36
	v_fmac_f32_e32 v40, 0xbf5db3d7, v36
	v_cmp_gt_u32_e64 s[0:1], 18, v32
	ds_write2_b32 v45, v39, v37 offset1:1
	ds_write_b32 v45, v8 offset:8
	s_and_saveexec_b64 s[2:3], s[0:1]
	s_cbranch_execz .LBB0_17
; %bb.16:
	v_add_f32_e32 v8, v22, v20
	v_lshl_add_u32 v20, v30, 2, v31
	v_add_f32_e32 v8, v24, v8
	v_add_u32_e32 v30, 0x798, v20
	ds_write2_b32 v30, v8, v6 offset1:1
	ds_write_b32 v20, v40 offset:1952
.LBB0_17:
	s_or_b64 exec, exec, s[2:3]
	v_add_f32_e32 v8, v27, v19
	v_add_f32_e32 v20, v29, v27
	v_lshlrev_b32_e32 v27, 3, v33
	v_sub_u32_e32 v5, v5, v27
	v_fmac_f32_e32 v19, -0.5, v20
	v_sub_f32_e32 v20, v26, v28
	v_lshlrev_b32_e32 v26, 2, v32
	v_add_u32_e32 v38, v5, v35
	v_lshlrev_b32_e32 v5, 3, v34
	v_add3_u32 v37, 0, v35, v26
	v_sub_u32_e32 v5, v18, v5
	v_add3_u32 v36, 0, v26, v35
	v_add_f32_e32 v8, v29, v8
	v_mov_b32_e32 v46, v19
	s_waitcnt lgkmcnt(0)
	s_barrier
	v_add_u32_e32 v39, v5, v35
	v_add_u32_e32 v18, 0x400, v36
	ds_read_b32 v5, v37
	ds_read_b32 v44, v38
	;; [unrolled: 1-line block ×3, first 2 shown]
	ds_read_b32 v42, v36 offset:1944
	ds_read2_b32 v[30:31], v36 offset0:162 offset1:216
	ds_read2_b32 v[28:29], v18 offset0:14 offset1:68
	;; [unrolled: 1-line block ×3, first 2 shown]
	v_fmac_f32_e32 v46, 0xbf5db3d7, v20
	s_waitcnt lgkmcnt(0)
	s_barrier
	ds_write2_b32 v41, v8, v46 offset1:1
	v_add_f32_e32 v8, v17, v7
	v_add_f32_e32 v17, v15, v17
	;; [unrolled: 1-line block ×5, first 2 shown]
	v_fmac_f32_e32 v9, -0.5, v11
	v_sub_f32_e32 v10, v10, v12
	v_fmac_f32_e32 v7, -0.5, v17
	v_mov_b32_e32 v11, v9
	v_fmac_f32_e32 v19, 0x3f5db3d7, v20
	v_sub_f32_e32 v14, v16, v14
	v_add_f32_e32 v12, v13, v15
	v_mov_b32_e32 v13, v7
	v_fmac_f32_e32 v11, 0xbf5db3d7, v10
	v_fmac_f32_e32 v9, 0x3f5db3d7, v10
	v_add_f32_e32 v10, v25, v23
	ds_write_b32 v41, v19 offset:8
	v_fmac_f32_e32 v13, 0xbf5db3d7, v14
	v_fma_f32 v41, -0.5, v10, v21
	v_fmac_f32_e32 v7, 0x3f5db3d7, v14
	ds_write2_b32 v0, v8, v13 offset1:1
	v_sub_f32_e32 v10, v22, v24
	v_mov_b32_e32 v8, v41
	v_fmac_f32_e32 v8, 0xbf5db3d7, v10
	v_fmac_f32_e32 v41, 0x3f5db3d7, v10
	ds_write_b32 v0, v7 offset:8
	v_add_u32_e32 v0, 0xa2, v32
	ds_write2_b32 v45, v12, v11 offset1:1
	ds_write_b32 v45, v9 offset:8
	s_and_saveexec_b64 s[2:3], s[0:1]
	s_cbranch_execz .LBB0_19
; %bb.18:
	v_add_f32_e32 v7, v23, v21
	v_mul_u32_u24_e32 v9, 12, v0
	v_add_f32_e32 v7, v25, v7
	v_add3_u32 v9, 0, v9, v35
	ds_write2_b32 v9, v7, v8 offset1:1
	ds_write_b32 v9, v41 offset:8
.LBB0_19:
	s_or_b64 exec, exec, s[2:3]
	s_movk_i32 s2, 0xab
	v_mul_lo_u16_sdwa v7, v32, s2 dst_sel:DWORD dst_unused:UNUSED_PAD src0_sel:BYTE_0 src1_sel:DWORD
	v_lshrrev_b16_e32 v57, 9, v7
	v_mul_lo_u16_e32 v7, 3, v57
	v_sub_u16_e32 v58, v32, v7
	v_mov_b32_e32 v7, 9
	v_mul_u32_u24_sdwa v7, v58, v7 dst_sel:DWORD dst_unused:UNUSED_PAD src0_sel:BYTE_0 src1_sel:DWORD
	v_lshlrev_b32_e32 v7, 3, v7
	s_waitcnt lgkmcnt(0)
	s_barrier
	global_load_dwordx4 v[9:12], v7, s[8:9] offset:16
	global_load_dwordx4 v[45:48], v7, s[8:9] offset:32
	global_load_dwordx4 v[49:52], v7, s[8:9]
	global_load_dwordx4 v[53:56], v7, s[8:9] offset:48
	global_load_dwordx2 v[13:14], v7, s[8:9] offset:64
	ds_read2_b32 v[16:17], v36 offset0:162 offset1:216
	s_mov_b32 s2, 0x3f737871
	s_mov_b32 s3, 0x3f167918
	;; [unrolled: 1-line block ×4, first 2 shown]
	s_waitcnt vmcnt(4) lgkmcnt(0)
	v_mul_f32_e32 v15, v16, v10
	v_mul_f32_e32 v7, v30, v10
	;; [unrolled: 1-line block ×3, first 2 shown]
	v_fma_f32 v21, v30, v9, -v15
	v_mul_f32_e32 v15, v31, v12
	v_fma_f32 v19, v31, v11, -v10
	v_fmac_f32_e32 v7, v16, v9
	v_fmac_f32_e32 v15, v17, v11
	ds_read2_b32 v[9:10], v18 offset0:14 offset1:68
	ds_read2_b32 v[11:12], v18 offset0:122 offset1:176
	s_waitcnt vmcnt(3)
	v_mul_f32_e32 v17, v28, v46
	s_waitcnt vmcnt(2)
	v_mul_f32_e32 v25, v43, v52
	;; [unrolled: 2-line block ×3, first 2 shown]
	s_waitcnt lgkmcnt(1)
	v_mul_f32_e32 v20, v10, v48
	v_mul_f32_e32 v16, v9, v46
	v_fma_f32 v24, v29, v47, -v20
	v_mul_f32_e32 v20, v29, v48
	v_fma_f32 v46, v28, v45, -v16
	v_fmac_f32_e32 v17, v9, v45
	v_fmac_f32_e32 v20, v10, v47
	ds_read_b32 v16, v37
	ds_read_b32 v9, v38
	;; [unrolled: 1-line block ×3, first 2 shown]
	ds_read_b32 v45, v36 offset:1944
	v_mul_f32_e32 v23, v44, v50
	s_waitcnt lgkmcnt(4)
	v_fmac_f32_e32 v30, v12, v55
	s_waitcnt lgkmcnt(2)
	v_mul_f32_e32 v22, v9, v50
	s_waitcnt lgkmcnt(1)
	v_mul_f32_e32 v28, v10, v52
	v_fmac_f32_e32 v25, v10, v51
	v_mul_f32_e32 v10, v12, v56
	v_fma_f32 v31, v43, v51, -v28
	s_waitcnt vmcnt(0) lgkmcnt(0)
	v_mul_f32_e32 v43, v45, v14
	v_fma_f32 v27, v27, v55, -v10
	v_mul_f32_e32 v28, v26, v54
	v_fma_f32 v10, v42, v13, -v43
	v_add_f32_e32 v12, v19, v24
	v_add_f32_e32 v43, v31, v27
	v_fmac_f32_e32 v23, v9, v49
	v_mul_f32_e32 v9, v11, v54
	v_mul_f32_e32 v29, v42, v14
	v_fmac_f32_e32 v28, v11, v53
	v_add_f32_e32 v11, v5, v31
	v_fma_f32 v12, -0.5, v12, v5
	v_fmac_f32_e32 v5, -0.5, v43
	v_fma_f32 v22, v44, v49, -v22
	v_fmac_f32_e32 v29, v45, v13
	v_sub_f32_e32 v13, v25, v30
	v_sub_f32_e32 v14, v15, v20
	v_mov_b32_e32 v48, v12
	v_mov_b32_e32 v49, v5
	v_fma_f32 v9, v26, v53, -v9
	v_sub_f32_e32 v26, v31, v19
	v_sub_f32_e32 v42, v27, v24
	v_fmac_f32_e32 v12, 0xbf737871, v13
	v_fmac_f32_e32 v5, 0x3f737871, v14
	;; [unrolled: 1-line block ×4, first 2 shown]
	v_sub_f32_e32 v44, v19, v31
	v_sub_f32_e32 v45, v24, v27
	v_add_f32_e32 v47, v22, v21
	v_add_f32_e32 v26, v26, v42
	v_fmac_f32_e32 v12, 0xbf167918, v14
	v_fmac_f32_e32 v5, 0xbf167918, v13
	;; [unrolled: 1-line block ×4, first 2 shown]
	v_add_f32_e32 v13, v46, v9
	v_add_f32_e32 v42, v44, v45
	;; [unrolled: 1-line block ×3, first 2 shown]
	v_fmac_f32_e32 v12, 0x3e9e377a, v26
	v_fmac_f32_e32 v48, 0x3e9e377a, v26
	v_fma_f32 v26, -0.5, v13, v22
	v_add_f32_e32 v43, v43, v9
	v_fmac_f32_e32 v5, 0x3e9e377a, v42
	v_fmac_f32_e32 v49, 0x3e9e377a, v42
	v_sub_f32_e32 v13, v7, v29
	v_mov_b32_e32 v42, v26
	v_add_f32_e32 v50, v43, v10
	v_fmac_f32_e32 v42, 0x3f737871, v13
	v_sub_f32_e32 v14, v17, v28
	v_sub_f32_e32 v43, v21, v46
	;; [unrolled: 1-line block ×3, first 2 shown]
	v_fmac_f32_e32 v26, 0xbf737871, v13
	v_fmac_f32_e32 v42, 0x3f167918, v14
	v_add_f32_e32 v43, v43, v44
	v_fmac_f32_e32 v26, 0xbf167918, v14
	v_fmac_f32_e32 v42, 0x3e9e377a, v43
	;; [unrolled: 1-line block ×3, first 2 shown]
	v_add_f32_e32 v43, v21, v10
	v_fmac_f32_e32 v22, -0.5, v43
	v_mov_b32_e32 v43, v22
	v_fmac_f32_e32 v43, 0xbf737871, v14
	v_sub_f32_e32 v44, v46, v21
	v_sub_f32_e32 v45, v9, v10
	v_fmac_f32_e32 v22, 0x3f737871, v14
	v_fmac_f32_e32 v43, 0x3f167918, v13
	v_add_f32_e32 v44, v44, v45
	v_fmac_f32_e32 v22, 0xbf167918, v13
	v_add_f32_e32 v13, v17, v28
	v_fmac_f32_e32 v43, 0x3e9e377a, v44
	v_fmac_f32_e32 v22, 0x3e9e377a, v44
	v_fma_f32 v44, -0.5, v13, v23
	v_sub_f32_e32 v10, v21, v10
	v_mov_b32_e32 v45, v44
	v_fmac_f32_e32 v45, 0xbf737871, v10
	v_sub_f32_e32 v9, v46, v9
	v_sub_f32_e32 v13, v7, v17
	;; [unrolled: 1-line block ×3, first 2 shown]
	v_fmac_f32_e32 v44, 0x3f737871, v10
	v_fmac_f32_e32 v45, 0xbf167918, v9
	v_add_f32_e32 v13, v13, v14
	v_fmac_f32_e32 v44, 0x3f167918, v9
	v_fmac_f32_e32 v45, 0x3e9e377a, v13
	;; [unrolled: 1-line block ×3, first 2 shown]
	v_add_f32_e32 v13, v7, v29
	v_fma_f32 v46, -0.5, v13, v23
	v_mov_b32_e32 v47, v46
	v_sub_f32_e32 v13, v17, v7
	v_sub_f32_e32 v14, v28, v29
	v_fmac_f32_e32 v46, 0xbf737871, v9
	v_fmac_f32_e32 v47, 0x3f737871, v9
	v_add_f32_e32 v13, v13, v14
	v_fmac_f32_e32 v46, 0x3f167918, v10
	v_fmac_f32_e32 v47, 0xbf167918, v10
	;; [unrolled: 1-line block ×3, first 2 shown]
	v_mul_f32_e32 v10, 0x3e9e377a, v22
	v_mul_f32_e32 v14, 0x3f167918, v45
	v_fma_f32 v21, v46, s2, -v10
	v_add_f32_e32 v11, v11, v19
	v_fmac_f32_e32 v47, 0x3e9e377a, v13
	v_fmac_f32_e32 v14, 0x3f4f1bbd, v42
	v_sub_f32_e32 v10, v5, v21
	v_add_f32_e32 v52, v5, v21
	v_mul_f32_e32 v5, 0x3f4f1bbd, v26
	v_add_f32_e32 v11, v11, v24
	v_mul_f32_e32 v9, 0x3f737871, v47
	v_add_f32_e32 v53, v48, v14
	v_fma_f32 v5, v44, s3, -v5
	v_sub_f32_e32 v21, v48, v14
	s_movk_i32 s2, 0x78
	v_mov_b32_e32 v48, 2
	v_add_f32_e32 v11, v11, v27
	v_fmac_f32_e32 v9, 0x3e9e377a, v43
	v_add_f32_e32 v14, v12, v5
	v_sub_f32_e32 v5, v12, v5
	v_mad_u32_u24 v12, v57, s2, 0
	v_lshlrev_b32_sdwa v48, v48, v58 dst_sel:DWORD dst_unused:UNUSED_PAD src0_sel:DWORD src1_sel:BYTE_0
	v_add_f32_e32 v13, v11, v50
	v_add_f32_e32 v51, v49, v9
	v_sub_f32_e32 v9, v49, v9
	v_sub_f32_e32 v11, v11, v50
	v_add3_u32 v49, v12, v48, v35
	s_barrier
	ds_write2_b32 v49, v13, v53 offset1:3
	ds_write2_b32 v49, v51, v52 offset0:6 offset1:9
	ds_write2_b32 v49, v14, v11 offset0:12 offset1:15
	;; [unrolled: 1-line block ×4, first 2 shown]
	s_waitcnt lgkmcnt(0)
	s_barrier
	ds_read2_b32 v[13:14], v36 offset0:90 offset1:180
	ds_read2_b32 v[11:12], v18 offset0:14 offset1:104
	ds_read_b32 v48, v37
	ds_read_b32 v50, v36 offset:1800
	v_cmp_gt_u32_e64 s[2:3], 36, v32
	s_and_saveexec_b64 s[4:5], s[2:3]
	s_cbranch_execz .LBB0_21
; %bb.20:
	v_add_u32_e32 v5, 0x400, v36
	ds_read2_b32 v[9:10], v36 offset0:144 offset1:234
	ds_read2_b32 v[5:6], v5 offset0:68 offset1:158
	ds_read_b32 v21, v38
	ds_read_b32 v40, v36 offset:2016
.LBB0_21:
	s_or_b64 exec, exec, s[4:5]
	v_add_f32_e32 v51, v15, v20
	v_fma_f32 v51, -0.5, v51, v16
	v_sub_f32_e32 v27, v31, v27
	v_mov_b32_e32 v31, v51
	v_fmac_f32_e32 v31, 0xbf737871, v27
	v_sub_f32_e32 v19, v19, v24
	v_sub_f32_e32 v24, v25, v15
	;; [unrolled: 1-line block ×3, first 2 shown]
	v_fmac_f32_e32 v51, 0x3f737871, v27
	v_fmac_f32_e32 v31, 0xbf167918, v19
	v_add_f32_e32 v24, v24, v52
	v_fmac_f32_e32 v51, 0x3f167918, v19
	v_fmac_f32_e32 v31, 0x3e9e377a, v24
	;; [unrolled: 1-line block ×3, first 2 shown]
	v_add_f32_e32 v24, v25, v30
	v_add_f32_e32 v18, v16, v25
	v_fmac_f32_e32 v16, -0.5, v24
	v_add_f32_e32 v18, v18, v15
	v_mov_b32_e32 v24, v16
	v_add_f32_e32 v18, v18, v20
	v_fmac_f32_e32 v24, 0x3f737871, v19
	v_sub_f32_e32 v15, v15, v25
	v_sub_f32_e32 v20, v20, v30
	v_fmac_f32_e32 v16, 0xbf737871, v19
	v_add_f32_e32 v7, v23, v7
	v_fmac_f32_e32 v24, 0xbf167918, v27
	v_add_f32_e32 v15, v15, v20
	;; [unrolled: 2-line block ×3, first 2 shown]
	v_fmac_f32_e32 v24, 0x3e9e377a, v15
	v_fmac_f32_e32 v16, 0x3e9e377a, v15
	v_add_f32_e32 v7, v7, v28
	v_mul_f32_e32 v15, 0xbf167918, v42
	v_mul_f32_e32 v20, 0xbf737871, v43
	;; [unrolled: 1-line block ×3, first 2 shown]
	v_add_f32_e32 v18, v18, v30
	v_add_f32_e32 v7, v7, v29
	v_fmac_f32_e32 v15, 0x3f4f1bbd, v45
	v_fmac_f32_e32 v20, 0x3e9e377a, v47
	v_fma_f32 v25, v22, s11, -v25
	v_mul_f32_e32 v22, 0x3f4f1bbd, v44
	v_add_f32_e32 v17, v18, v7
	v_add_f32_e32 v19, v31, v15
	;; [unrolled: 1-line block ×4, first 2 shown]
	v_fma_f32 v26, v26, s10, -v22
	v_sub_f32_e32 v18, v18, v7
	v_sub_f32_e32 v16, v16, v25
	v_add_u32_e32 v25, 0x400, v36
	v_add_f32_e32 v28, v51, v26
	v_sub_f32_e32 v22, v31, v15
	v_sub_f32_e32 v15, v24, v20
	v_sub_f32_e32 v7, v51, v26
	s_waitcnt lgkmcnt(0)
	s_barrier
	ds_write2_b32 v49, v17, v19 offset1:3
	ds_write2_b32 v49, v23, v27 offset0:6 offset1:9
	ds_write2_b32 v49, v28, v18 offset0:12 offset1:15
	;; [unrolled: 1-line block ×4, first 2 shown]
	s_waitcnt lgkmcnt(0)
	s_barrier
	ds_read2_b32 v[19:20], v36 offset0:90 offset1:180
	ds_read2_b32 v[17:18], v25 offset0:14 offset1:104
	ds_read_b32 v24, v37
	ds_read_b32 v23, v36 offset:1800
	s_and_saveexec_b64 s[4:5], s[2:3]
	s_cbranch_execz .LBB0_23
; %bb.22:
	ds_read2_b32 v[15:16], v36 offset0:144 offset1:234
	ds_read2_b32 v[7:8], v25 offset0:68 offset1:158
	ds_read_b32 v22, v38
	ds_read_b32 v41, v36 offset:2016
.LBB0_23:
	s_or_b64 exec, exec, s[4:5]
	v_subrev_u32_e32 v25, 30, v32
	v_cmp_gt_u32_e64 s[4:5], 30, v32
	v_cndmask_b32_e64 v52, v25, v32, s[4:5]
	v_mul_i32_i24_e32 v25, 5, v52
	v_mov_b32_e32 v26, 0
	v_lshlrev_b64 v[25:26], 3, v[25:26]
	v_mov_b32_e32 v27, s9
	v_add_co_u32_e64 v25, s[4:5], s8, v25
	v_addc_co_u32_e64 v26, s[4:5], v27, v26, s[4:5]
	global_load_dwordx2 v[46:47], v[25:26], off offset:248
	global_load_dwordx4 v[42:45], v[25:26], off offset:232
	global_load_dwordx4 v[28:31], v[25:26], off offset:216
	s_movk_i32 s4, 0x89
	v_mov_b32_e32 v55, 0x2d0
	v_lshlrev_b32_e32 v52, 2, v52
	s_movk_i32 s10, 0x2d0
	s_waitcnt vmcnt(0) lgkmcnt(3)
	v_mul_f32_e32 v25, v19, v29
	v_fma_f32 v26, v13, v28, -v25
	v_mul_f32_e32 v27, v13, v29
	v_mul_f32_e32 v13, v20, v31
	v_fmac_f32_e32 v27, v19, v28
	v_fma_f32 v19, v14, v30, -v13
	v_mul_f32_e32 v28, v14, v31
	s_waitcnt lgkmcnt(2)
	v_mul_f32_e32 v13, v17, v43
	v_fmac_f32_e32 v28, v20, v30
	v_fma_f32 v25, v11, v42, -v13
	v_mul_f32_e32 v20, v11, v43
	v_mul_f32_e32 v11, v18, v45
	v_fma_f32 v31, v12, v44, -v11
	s_waitcnt lgkmcnt(0)
	v_mul_f32_e32 v11, v23, v47
	v_fma_f32 v29, v50, v46, -v11
	v_mul_lo_u16_sdwa v11, v33, s4 dst_sel:DWORD dst_unused:UNUSED_PAD src0_sel:BYTE_0 src1_sel:DWORD
	v_fmac_f32_e32 v20, v17, v42
	v_lshrrev_b16_e32 v17, 12, v11
	v_mul_f32_e32 v42, v12, v45
	v_mul_lo_u16_e32 v11, 30, v17
	v_fmac_f32_e32 v42, v18, v44
	v_sub_u16_e32 v18, v33, v11
	v_mov_b32_e32 v11, 5
	v_mul_f32_e32 v30, v50, v47
	v_mul_u32_u24_sdwa v11, v18, v11 dst_sel:DWORD dst_unused:UNUSED_PAD src0_sel:BYTE_0 src1_sel:DWORD
	v_fmac_f32_e32 v30, v23, v46
	v_lshlrev_b32_e32 v23, 3, v11
	global_load_dwordx2 v[49:50], v23, s[8:9] offset:248
	global_load_dwordx4 v[11:14], v23, s[8:9] offset:232
	global_load_dwordx4 v[44:47], v23, s[8:9] offset:216
	v_cmp_lt_u32_e64 s[4:5], 29, v32
	v_cndmask_b32_e64 v55, 0, v55, s[4:5]
	v_add_u32_e32 v55, 0, v55
	v_add3_u32 v52, v55, v52, v35
	s_waitcnt vmcnt(0)
	s_barrier
	v_mul_f32_e32 v23, v15, v45
	v_fma_f32 v43, v9, v44, -v23
	v_mul_f32_e32 v9, v9, v45
	v_fmac_f32_e32 v9, v15, v44
	v_mul_f32_e32 v15, v16, v47
	v_fma_f32 v44, v10, v46, -v15
	v_mul_f32_e32 v45, v10, v47
	v_mul_f32_e32 v10, v7, v12
	v_fma_f32 v15, v5, v11, -v10
	v_mul_f32_e32 v10, v5, v12
	v_fmac_f32_e32 v10, v7, v11
	v_mul_f32_e32 v5, v8, v14
	v_add_f32_e32 v11, v19, v31
	v_fmac_f32_e32 v45, v16, v46
	v_fma_f32 v7, v6, v13, -v5
	v_mul_f32_e32 v46, v6, v14
	v_add_f32_e32 v6, v48, v19
	v_fmac_f32_e32 v48, -0.5, v11
	v_fmac_f32_e32 v46, v8, v13
	v_sub_f32_e32 v11, v28, v42
	v_mov_b32_e32 v12, v48
	v_add_f32_e32 v13, v25, v29
	v_mul_f32_e32 v8, v40, v50
	v_fmac_f32_e32 v12, 0x3f5db3d7, v11
	v_fmac_f32_e32 v48, 0xbf5db3d7, v11
	v_add_f32_e32 v11, v26, v25
	v_fmac_f32_e32 v26, -0.5, v13
	v_mul_f32_e32 v5, v41, v50
	v_fmac_f32_e32 v8, v41, v49
	v_sub_f32_e32 v13, v20, v30
	v_mov_b32_e32 v41, v26
	v_fmac_f32_e32 v41, 0x3f5db3d7, v13
	v_fmac_f32_e32 v26, 0xbf5db3d7, v13
	v_add_f32_e32 v13, v20, v30
	v_fma_f32 v47, -0.5, v13, v27
	v_fma_f32 v5, v40, v49, -v5
	v_add_f32_e32 v6, v6, v31
	v_add_f32_e32 v11, v11, v29
	v_sub_f32_e32 v13, v25, v29
	v_mov_b32_e32 v49, v47
	v_fmac_f32_e32 v49, 0xbf5db3d7, v13
	v_add_f32_e32 v16, v6, v11
	v_sub_f32_e32 v40, v6, v11
	v_add_f32_e32 v6, v21, v44
	v_fmac_f32_e32 v47, 0x3f5db3d7, v13
	v_mul_f32_e32 v13, 0x3f5db3d7, v49
	v_add_f32_e32 v11, v6, v7
	v_add_f32_e32 v6, v44, v7
	v_fmac_f32_e32 v13, 0.5, v41
	v_fmac_f32_e32 v21, -0.5, v6
	v_add_f32_e32 v25, v12, v13
	v_sub_f32_e32 v53, v12, v13
	v_sub_f32_e32 v6, v45, v46
	v_mov_b32_e32 v12, v21
	v_fmac_f32_e32 v12, 0x3f5db3d7, v6
	v_fmac_f32_e32 v21, 0xbf5db3d7, v6
	v_add_f32_e32 v6, v43, v15
	v_mul_f32_e32 v14, -0.5, v26
	v_add_f32_e32 v13, v6, v5
	v_add_f32_e32 v6, v15, v5
	v_fmac_f32_e32 v14, 0x3f5db3d7, v47
	v_fmac_f32_e32 v43, -0.5, v6
	v_add_f32_e32 v29, v48, v14
	v_sub_f32_e32 v54, v48, v14
	v_sub_f32_e32 v6, v10, v8
	v_mov_b32_e32 v48, v43
	v_fmac_f32_e32 v48, 0x3f5db3d7, v6
	v_fmac_f32_e32 v43, 0xbf5db3d7, v6
	v_add_f32_e32 v6, v10, v8
	v_fma_f32 v50, -0.5, v6, v9
	v_sub_f32_e32 v5, v15, v5
	v_mov_b32_e32 v51, v50
	v_fmac_f32_e32 v51, 0xbf5db3d7, v5
	v_fmac_f32_e32 v50, 0x3f5db3d7, v5
	v_mul_f32_e32 v14, 0x3f5db3d7, v51
	v_mul_f32_e32 v15, -0.5, v43
	v_fmac_f32_e32 v14, 0.5, v48
	v_fmac_f32_e32 v15, 0x3f5db3d7, v50
	v_sub_f32_e32 v5, v11, v13
	v_sub_f32_e32 v6, v12, v14
	;; [unrolled: 1-line block ×3, first 2 shown]
	ds_write2_b32 v52, v16, v25 offset1:30
	ds_write2_b32 v52, v29, v40 offset0:60 offset1:90
	ds_write2_b32 v52, v53, v54 offset0:120 offset1:150
	s_and_saveexec_b64 s[4:5], s[2:3]
	s_cbranch_execz .LBB0_25
; %bb.24:
	v_add_f32_e32 v12, v12, v14
	v_mov_b32_e32 v14, 2
	v_add_f32_e32 v11, v11, v13
	v_mad_u32_u24 v13, v17, s10, 0
	v_lshlrev_b32_sdwa v14, v14, v18 dst_sel:DWORD dst_unused:UNUSED_PAD src0_sel:DWORD src1_sel:BYTE_0
	v_add3_u32 v13, v13, v14, v35
	v_add_f32_e32 v15, v21, v15
	ds_write2_b32 v13, v11, v12 offset1:30
	ds_write2_b32 v13, v15, v5 offset0:60 offset1:90
	ds_write2_b32 v13, v6, v23 offset0:120 offset1:150
.LBB0_25:
	s_or_b64 exec, exec, s[4:5]
	v_add_u32_e32 v15, 0x400, v36
	s_waitcnt lgkmcnt(0)
	s_barrier
	ds_read2_b32 v[11:12], v36 offset0:180 offset1:234
	ds_read2_b32 v[13:14], v15 offset0:32 offset1:104
	;; [unrolled: 1-line block ×3, first 2 shown]
	ds_read_b32 v25, v37
	ds_read_b32 v29, v38
	;; [unrolled: 1-line block ×3, first 2 shown]
	s_and_saveexec_b64 s[4:5], s[0:1]
	s_cbranch_execz .LBB0_27
; %bb.26:
	v_add_u32_e32 v5, 0x200, v36
	ds_read2_b32 v[5:6], v5 offset0:34 offset1:214
	ds_read_b32 v23, v36 offset:2088
.LBB0_27:
	s_or_b64 exec, exec, s[4:5]
	v_add_f32_e32 v21, v24, v28
	v_add_f32_e32 v28, v28, v42
	v_fmac_f32_e32 v24, -0.5, v28
	v_sub_f32_e32 v19, v19, v31
	v_mov_b32_e32 v28, v24
	v_fmac_f32_e32 v28, 0xbf5db3d7, v19
	v_fmac_f32_e32 v24, 0x3f5db3d7, v19
	v_add_f32_e32 v19, v27, v20
	v_mul_f32_e32 v20, 0xbf5db3d7, v41
	v_fmac_f32_e32 v20, 0.5, v49
	v_add_f32_e32 v21, v21, v42
	v_add_f32_e32 v19, v19, v30
	;; [unrolled: 1-line block ×3, first 2 shown]
	v_sub_f32_e32 v28, v28, v20
	v_add_f32_e32 v20, v45, v46
	v_add_f32_e32 v27, v21, v19
	v_sub_f32_e32 v41, v21, v19
	v_add_f32_e32 v19, v22, v45
	v_fmac_f32_e32 v22, -0.5, v20
	v_sub_f32_e32 v7, v44, v7
	v_mov_b32_e32 v20, v22
	v_mul_f32_e32 v31, -0.5, v47
	v_fmac_f32_e32 v20, 0xbf5db3d7, v7
	v_fmac_f32_e32 v22, 0x3f5db3d7, v7
	v_add_f32_e32 v7, v9, v10
	v_mul_f32_e32 v10, 0xbf5db3d7, v48
	v_mul_f32_e32 v21, -0.5, v50
	v_fmac_f32_e32 v31, 0xbf5db3d7, v26
	v_add_f32_e32 v19, v19, v46
	v_add_f32_e32 v9, v7, v8
	v_fmac_f32_e32 v10, 0.5, v51
	v_fmac_f32_e32 v21, 0xbf5db3d7, v43
	v_add_f32_e32 v26, v24, v31
	v_sub_f32_e32 v31, v24, v31
	v_sub_f32_e32 v7, v19, v9
	v_sub_f32_e32 v8, v20, v10
	v_sub_f32_e32 v24, v22, v21
	s_waitcnt lgkmcnt(0)
	s_barrier
	ds_write2_b32 v52, v27, v30 offset1:30
	ds_write2_b32 v52, v26, v41 offset0:60 offset1:90
	ds_write2_b32 v52, v28, v31 offset0:120 offset1:150
	s_and_saveexec_b64 s[4:5], s[2:3]
	s_cbranch_execz .LBB0_29
; %bb.28:
	v_add_f32_e32 v10, v20, v10
	s_movk_i32 s2, 0x2d0
	v_mov_b32_e32 v20, 2
	v_mad_u32_u24 v17, v17, s2, 0
	v_lshlrev_b32_sdwa v18, v20, v18 dst_sel:DWORD dst_unused:UNUSED_PAD src0_sel:DWORD src1_sel:BYTE_0
	v_add_f32_e32 v9, v19, v9
	v_add3_u32 v17, v17, v18, v35
	v_add_f32_e32 v19, v22, v21
	ds_write2_b32 v17, v9, v10 offset1:30
	ds_write2_b32 v17, v19, v7 offset0:60 offset1:90
	ds_write2_b32 v17, v8, v24 offset0:120 offset1:150
.LBB0_29:
	s_or_b64 exec, exec, s[4:5]
	v_add_u32_e32 v9, 0x400, v36
	s_waitcnt lgkmcnt(0)
	s_barrier
	ds_read2_b32 v[17:18], v36 offset0:180 offset1:234
	ds_read2_b32 v[19:20], v9 offset0:32 offset1:104
	;; [unrolled: 1-line block ×3, first 2 shown]
	ds_read_b32 v26, v37
	ds_read_b32 v27, v38
	ds_read_b32 v28, v39
	s_and_saveexec_b64 s[2:3], s[0:1]
	s_cbranch_execz .LBB0_31
; %bb.30:
	v_add_u32_e32 v7, 0x200, v36
	ds_read2_b32 v[7:8], v7 offset0:34 offset1:214
	ds_read_b32 v24, v36 offset:2088
.LBB0_31:
	s_or_b64 exec, exec, s[2:3]
	s_and_saveexec_b64 s[2:3], vcc
	s_cbranch_execz .LBB0_34
; %bb.32:
	v_lshlrev_b32_e32 v9, 1, v34
	v_mov_b32_e32 v10, 0
	v_lshlrev_b64 v[30:31], 3, v[9:10]
	v_mov_b32_e32 v38, s9
	v_add_co_u32_e32 v30, vcc, s8, v30
	v_addc_co_u32_e32 v31, vcc, v38, v31, vcc
	v_lshlrev_b32_e32 v9, 1, v33
	global_load_dwordx4 v[34:37], v[30:31], off offset:1416
	v_lshlrev_b64 v[30:31], 3, v[9:10]
	v_lshlrev_b32_e32 v9, 1, v32
	v_add_co_u32_e32 v30, vcc, s8, v30
	v_addc_co_u32_e32 v31, vcc, v38, v31, vcc
	global_load_dwordx4 v[41:44], v[30:31], off offset:1416
	v_lshlrev_b64 v[30:31], 3, v[9:10]
	v_mul_lo_u32 v9, s7, v3
	v_add_co_u32_e32 v30, vcc, s8, v30
	v_addc_co_u32_e32 v31, vcc, v38, v31, vcc
	global_load_dwordx4 v[45:48], v[30:31], off offset:1416
	v_mul_lo_u32 v30, s6, v4
	v_mad_u64_u32 v[3:4], s[2:3], s6, v3, 0
	v_lshrrev_b32_e32 v31, 2, v32
	s_mov_b32 s3, 0x16c16c17
	v_add3_u32 v4, v4, v30, v9
	v_mul_hi_u32 v31, v31, s3
	s_movk_i32 s2, 0xb4
	v_lshlrev_b64 v[3:4], 3, v[3:4]
	v_lshlrev_b64 v[1:2], 3, v[1:2]
	s_movk_i32 s6, 0x21c
	s_waitcnt vmcnt(2) lgkmcnt(4)
	v_mul_f32_e32 v9, v19, v35
	v_mul_f32_e32 v33, v13, v35
	;; [unrolled: 1-line block ×3, first 2 shown]
	s_waitcnt lgkmcnt(3)
	v_mul_f32_e32 v30, v22, v37
	v_fmac_f32_e32 v33, v19, v34
	v_fmac_f32_e32 v35, v22, v36
	v_fma_f32 v9, v13, v34, -v9
	s_waitcnt vmcnt(1)
	v_mul_f32_e32 v19, v12, v42
	v_mul_f32_e32 v22, v15, v44
	v_fma_f32 v30, v16, v36, -v30
	v_mul_f32_e32 v13, v18, v42
	v_mul_f32_e32 v16, v21, v44
	v_add_f32_e32 v36, v33, v35
	v_fmac_f32_e32 v19, v18, v41
	v_fmac_f32_e32 v22, v21, v43
	v_sub_f32_e32 v34, v9, v30
	s_waitcnt lgkmcnt(0)
	v_add_f32_e32 v37, v28, v33
	v_add_f32_e32 v38, v9, v30
	;; [unrolled: 1-line block ×3, first 2 shown]
	v_fma_f32 v39, v12, v41, -v13
	v_fma_f32 v42, v15, v43, -v16
	s_waitcnt vmcnt(0)
	v_mul_f32_e32 v41, v11, v46
	v_mul_f32_e32 v43, v14, v48
	v_fma_f32 v13, -0.5, v36, v28
	v_add_f32_e32 v28, v19, v22
	v_mul_f32_e32 v21, v20, v48
	v_add_f32_e32 v15, v9, v30
	v_add_f32_e32 v30, v27, v19
	v_fmac_f32_e32 v41, v17, v45
	v_fmac_f32_e32 v43, v20, v47
	v_fma_f32 v20, -0.5, v28, v27
	v_sub_f32_e32 v9, v39, v42
	v_sub_f32_e32 v36, v19, v22
	v_add_f32_e32 v22, v30, v22
	v_add_f32_e32 v30, v41, v43
	v_mov_b32_e32 v28, v20
	v_fmac_f32_e32 v20, 0xbf5db3d7, v9
	v_fma_f32 v30, -0.5, v30, v26
	v_fmac_f32_e32 v28, 0x3f5db3d7, v9
	v_add_f32_e32 v9, v26, v41
	v_lshrrev_b32_e32 v26, 2, v31
	v_mul_lo_u32 v31, v26, s2
	v_sub_f32_e32 v33, v33, v35
	v_add_f32_e32 v16, v37, v35
	v_add_f32_e32 v35, v39, v42
	v_fma_f32 v19, -0.5, v35, v29
	v_mov_b32_e32 v27, v19
	v_sub_u32_e32 v31, v32, v31
	v_fmac_f32_e32 v19, 0x3f5db3d7, v36
	v_fmac_f32_e32 v27, 0xbf5db3d7, v36
	v_mad_u64_u32 v[35:36], s[4:5], s20, v31, 0
	v_mul_f32_e32 v18, v17, v46
	v_fma_f32 v11, v11, v45, -v18
	v_fma_f32 v14, v14, v47, -v21
	v_mov_b32_e32 v18, v13
	v_add_f32_e32 v37, v29, v39
	v_fmac_f32_e32 v13, 0xbf5db3d7, v34
	v_sub_f32_e32 v29, v11, v14
	v_fmac_f32_e32 v18, 0x3f5db3d7, v34
	v_mov_b32_e32 v34, v30
	v_add_f32_e32 v26, v9, v43
	v_add_f32_e32 v9, v11, v14
	v_fmac_f32_e32 v34, 0x3f5db3d7, v29
	v_fmac_f32_e32 v30, 0xbf5db3d7, v29
	v_fma_f32 v29, -0.5, v9, v25
	v_mov_b32_e32 v9, v36
	v_add_f32_e32 v21, v37, v42
	v_mad_u64_u32 v[36:37], s[4:5], s21, v31, v[9:10]
	v_add_f32_e32 v9, v25, v11
	v_add_f32_e32 v25, v9, v14
	v_mov_b32_e32 v9, s15
	v_add_co_u32_e32 v11, vcc, s14, v3
	v_add_u32_e32 v14, 0xb4, v31
	v_addc_co_u32_e32 v9, vcc, v9, v4, vcc
	v_mad_u64_u32 v[3:4], s[4:5], s20, v14, 0
	v_fma_f32 v12, -0.5, v38, v40
	v_mov_b32_e32 v17, v12
	v_fmac_f32_e32 v12, 0x3f5db3d7, v33
	v_fmac_f32_e32 v17, 0xbf5db3d7, v33
	v_sub_f32_e32 v38, v41, v43
	v_mov_b32_e32 v33, v29
	v_fmac_f32_e32 v33, 0xbf5db3d7, v38
	v_fmac_f32_e32 v29, 0x3f5db3d7, v38
	v_mad_u64_u32 v[37:38], s[4:5], s21, v14, v[4:5]
	v_add_co_u32_e32 v1, vcc, v11, v1
	v_add_u32_e32 v11, 54, v32
	v_lshlrev_b64 v[35:36], 3, v[35:36]
	v_lshrrev_b32_e32 v14, 2, v11
	v_addc_co_u32_e32 v2, vcc, v9, v2, vcc
	v_mov_b32_e32 v4, v37
	v_mul_hi_u32 v14, v14, s3
	v_add_co_u32_e32 v35, vcc, v1, v35
	v_lshlrev_b64 v[3:4], 3, v[3:4]
	v_addc_co_u32_e32 v36, vcc, v2, v36, vcc
	v_add_u32_e32 v9, 0x168, v31
	global_store_dwordx2 v[35:36], v[25:26], off
	v_add_co_u32_e32 v3, vcc, v1, v3
	v_mad_u64_u32 v[25:26], s[4:5], s20, v9, 0
	v_addc_co_u32_e32 v4, vcc, v2, v4, vcc
	v_lshrrev_b32_e32 v14, 2, v14
	global_store_dwordx2 v[3:4], v[29:30], off
	v_mul_lo_u32 v29, v14, s2
	v_mov_b32_e32 v3, v26
	v_mad_u64_u32 v[3:4], s[4:5], s21, v9, v[3:4]
	v_sub_u32_e32 v4, v11, v29
	v_mad_u64_u32 v[29:30], s[4:5], v14, s6, v[4:5]
	v_mov_b32_e32 v26, v3
	v_lshlrev_b64 v[3:4], 3, v[25:26]
	v_mad_u64_u32 v[25:26], s[4:5], s20, v29, 0
	v_add_u32_e32 v11, 0xb4, v29
	v_mad_u64_u32 v[35:36], s[4:5], s20, v11, 0
	v_mov_b32_e32 v9, v26
	v_mad_u64_u32 v[30:31], s[4:5], s21, v29, v[9:10]
	v_add_co_u32_e32 v3, vcc, v1, v3
	v_addc_co_u32_e32 v4, vcc, v2, v4, vcc
	v_mov_b32_e32 v26, v30
	v_mov_b32_e32 v9, v36
	global_store_dwordx2 v[3:4], v[33:34], off
	v_lshlrev_b64 v[3:4], 3, v[25:26]
	v_mad_u64_u32 v[25:26], s[4:5], s21, v11, v[9:10]
	v_add_u32_e32 v11, 0x6c, v32
	v_lshrrev_b32_e32 v9, 2, v11
	v_mul_hi_u32 v9, v9, s3
	v_mov_b32_e32 v36, v25
	v_add_co_u32_e32 v3, vcc, v1, v3
	v_lshrrev_b32_e32 v25, 2, v9
	v_mul_lo_u32 v26, v25, s2
	v_addc_co_u32_e32 v4, vcc, v2, v4, vcc
	v_add_u32_e32 v14, 0x168, v29
	global_store_dwordx2 v[3:4], v[21:22], off
	v_mad_u64_u32 v[21:22], s[4:5], s20, v14, 0
	v_sub_u32_e32 v11, v11, v26
	v_mad_u64_u32 v[25:26], s[4:5], v25, s6, v[11:12]
	v_mov_b32_e32 v9, v22
	v_mad_u64_u32 v[29:30], s[4:5], s21, v14, v[9:10]
	v_mad_u64_u32 v[30:31], s[4:5], s20, v25, 0
	v_lshlrev_b64 v[3:4], 3, v[35:36]
	v_add_u32_e32 v11, 0xb4, v25
	v_add_co_u32_e32 v3, vcc, v1, v3
	v_addc_co_u32_e32 v4, vcc, v2, v4, vcc
	v_mov_b32_e32 v9, v31
	global_store_dwordx2 v[3:4], v[19:20], off
	v_mad_u64_u32 v[19:20], s[4:5], s21, v25, v[9:10]
	v_mov_b32_e32 v22, v29
	v_lshlrev_b64 v[3:4], 3, v[21:22]
	v_mov_b32_e32 v31, v19
	v_mad_u64_u32 v[19:20], s[4:5], s20, v11, 0
	v_add_co_u32_e32 v3, vcc, v1, v3
	v_mov_b32_e32 v9, v20
	v_mad_u64_u32 v[20:21], s[4:5], s21, v11, v[9:10]
	v_add_u32_e32 v11, 0x168, v25
	v_addc_co_u32_e32 v4, vcc, v2, v4, vcc
	v_mad_u64_u32 v[21:22], s[4:5], s20, v11, 0
	global_store_dwordx2 v[3:4], v[27:28], off
	v_lshlrev_b64 v[3:4], 3, v[30:31]
	v_mov_b32_e32 v9, v22
	v_add_co_u32_e32 v3, vcc, v1, v3
	v_addc_co_u32_e32 v4, vcc, v2, v4, vcc
	global_store_dwordx2 v[3:4], v[15:16], off
	v_mad_u64_u32 v[14:15], s[4:5], s21, v11, v[9:10]
	v_lshlrev_b64 v[3:4], 3, v[19:20]
	v_add_co_u32_e32 v3, vcc, v1, v3
	v_addc_co_u32_e32 v4, vcc, v2, v4, vcc
	v_mov_b32_e32 v22, v14
	global_store_dwordx2 v[3:4], v[12:13], off
	v_lshlrev_b64 v[3:4], 3, v[21:22]
	v_add_co_u32_e32 v3, vcc, v1, v3
	v_addc_co_u32_e32 v4, vcc, v2, v4, vcc
	global_store_dwordx2 v[3:4], v[17:18], off
	v_add_u32_e32 v3, 0xa2, v32
	v_cmp_gt_u32_e32 vcc, s2, v3
	s_and_b64 exec, exec, vcc
	s_cbranch_execz .LBB0_34
; %bb.33:
	v_subrev_u32_e32 v4, 18, v32
	v_cndmask_b32_e64 v0, v4, v0, s[0:1]
	v_lshlrev_b32_e32 v9, 1, v0
	v_lshlrev_b64 v[9:10], 3, v[9:10]
	v_mov_b32_e32 v0, s9
	v_add_co_u32_e32 v9, vcc, s8, v9
	v_addc_co_u32_e32 v10, vcc, v0, v10, vcc
	global_load_dwordx4 v[9:12], v[9:10], off offset:1416
	v_mad_u64_u32 v[13:14], s[0:1], s20, v3, 0
	v_add_u32_e32 v19, 0x156, v32
	v_add_u32_e32 v20, 0x20a, v32
	v_mad_u64_u32 v[15:16], s[0:1], s20, v19, 0
	v_mad_u64_u32 v[17:18], s[0:1], s20, v20, 0
	v_mov_b32_e32 v0, v14
	v_mad_u64_u32 v[3:4], s[0:1], s21, v3, v[0:1]
	v_mov_b32_e32 v0, v16
	v_mov_b32_e32 v4, v18
	v_mad_u64_u32 v[18:19], s[0:1], s21, v19, v[0:1]
	v_mad_u64_u32 v[19:20], s[0:1], s21, v20, v[4:5]
	v_mov_b32_e32 v14, v3
	v_lshlrev_b64 v[3:4], 3, v[13:14]
	v_mov_b32_e32 v16, v18
	v_lshlrev_b64 v[13:14], 3, v[15:16]
	v_add_co_u32_e32 v3, vcc, v1, v3
	v_mov_b32_e32 v18, v19
	v_addc_co_u32_e32 v4, vcc, v2, v4, vcc
	v_lshlrev_b64 v[15:16], 3, v[17:18]
	v_add_co_u32_e32 v13, vcc, v1, v13
	v_addc_co_u32_e32 v14, vcc, v2, v14, vcc
	v_add_co_u32_e32 v0, vcc, v1, v15
	v_addc_co_u32_e32 v1, vcc, v2, v16, vcc
	s_waitcnt vmcnt(0)
	v_mul_f32_e32 v2, v8, v10
	v_mul_f32_e32 v10, v6, v10
	;; [unrolled: 1-line block ×4, first 2 shown]
	v_fma_f32 v2, v6, v9, -v2
	v_fmac_f32_e32 v10, v8, v9
	v_fma_f32 v6, v23, v11, -v15
	v_fmac_f32_e32 v12, v24, v11
	v_add_f32_e32 v9, v2, v6
	v_sub_f32_e32 v15, v10, v12
	v_add_f32_e32 v11, v7, v10
	v_add_f32_e32 v10, v10, v12
	;; [unrolled: 1-line block ×3, first 2 shown]
	v_fmac_f32_e32 v5, -0.5, v9
	v_fmac_f32_e32 v7, -0.5, v10
	v_sub_f32_e32 v2, v2, v6
	v_add_f32_e32 v9, v11, v12
	v_mov_b32_e32 v10, v5
	v_mov_b32_e32 v11, v7
	v_add_f32_e32 v8, v8, v6
	v_fmac_f32_e32 v7, 0x3f5db3d7, v2
	v_fmac_f32_e32 v10, 0x3f5db3d7, v15
	;; [unrolled: 1-line block ×4, first 2 shown]
	global_store_dwordx2 v[3:4], v[8:9], off
	v_mov_b32_e32 v6, v7
	global_store_dwordx2 v[13:14], v[10:11], off
	global_store_dwordx2 v[0:1], v[5:6], off
.LBB0_34:
	s_endpgm
	.section	.rodata,"a",@progbits
	.p2align	6, 0x0
	.amdhsa_kernel fft_rtc_fwd_len540_factors_3_10_6_3_wgs_216_tpt_54_halfLds_sp_op_CI_CI_sbrr_dirReg
		.amdhsa_group_segment_fixed_size 0
		.amdhsa_private_segment_fixed_size 0
		.amdhsa_kernarg_size 104
		.amdhsa_user_sgpr_count 6
		.amdhsa_user_sgpr_private_segment_buffer 1
		.amdhsa_user_sgpr_dispatch_ptr 0
		.amdhsa_user_sgpr_queue_ptr 0
		.amdhsa_user_sgpr_kernarg_segment_ptr 1
		.amdhsa_user_sgpr_dispatch_id 0
		.amdhsa_user_sgpr_flat_scratch_init 0
		.amdhsa_user_sgpr_private_segment_size 0
		.amdhsa_uses_dynamic_stack 0
		.amdhsa_system_sgpr_private_segment_wavefront_offset 0
		.amdhsa_system_sgpr_workgroup_id_x 1
		.amdhsa_system_sgpr_workgroup_id_y 0
		.amdhsa_system_sgpr_workgroup_id_z 0
		.amdhsa_system_sgpr_workgroup_info 0
		.amdhsa_system_vgpr_workitem_id 0
		.amdhsa_next_free_vgpr 59
		.amdhsa_next_free_sgpr 32
		.amdhsa_reserve_vcc 1
		.amdhsa_reserve_flat_scratch 0
		.amdhsa_float_round_mode_32 0
		.amdhsa_float_round_mode_16_64 0
		.amdhsa_float_denorm_mode_32 3
		.amdhsa_float_denorm_mode_16_64 3
		.amdhsa_dx10_clamp 1
		.amdhsa_ieee_mode 1
		.amdhsa_fp16_overflow 0
		.amdhsa_exception_fp_ieee_invalid_op 0
		.amdhsa_exception_fp_denorm_src 0
		.amdhsa_exception_fp_ieee_div_zero 0
		.amdhsa_exception_fp_ieee_overflow 0
		.amdhsa_exception_fp_ieee_underflow 0
		.amdhsa_exception_fp_ieee_inexact 0
		.amdhsa_exception_int_div_zero 0
	.end_amdhsa_kernel
	.text
.Lfunc_end0:
	.size	fft_rtc_fwd_len540_factors_3_10_6_3_wgs_216_tpt_54_halfLds_sp_op_CI_CI_sbrr_dirReg, .Lfunc_end0-fft_rtc_fwd_len540_factors_3_10_6_3_wgs_216_tpt_54_halfLds_sp_op_CI_CI_sbrr_dirReg
                                        ; -- End function
	.section	.AMDGPU.csdata,"",@progbits
; Kernel info:
; codeLenInByte = 7252
; NumSgprs: 36
; NumVgprs: 59
; ScratchSize: 0
; MemoryBound: 0
; FloatMode: 240
; IeeeMode: 1
; LDSByteSize: 0 bytes/workgroup (compile time only)
; SGPRBlocks: 4
; VGPRBlocks: 14
; NumSGPRsForWavesPerEU: 36
; NumVGPRsForWavesPerEU: 59
; Occupancy: 4
; WaveLimiterHint : 1
; COMPUTE_PGM_RSRC2:SCRATCH_EN: 0
; COMPUTE_PGM_RSRC2:USER_SGPR: 6
; COMPUTE_PGM_RSRC2:TRAP_HANDLER: 0
; COMPUTE_PGM_RSRC2:TGID_X_EN: 1
; COMPUTE_PGM_RSRC2:TGID_Y_EN: 0
; COMPUTE_PGM_RSRC2:TGID_Z_EN: 0
; COMPUTE_PGM_RSRC2:TIDIG_COMP_CNT: 0
	.type	__hip_cuid_7b01be45f6772b2b,@object ; @__hip_cuid_7b01be45f6772b2b
	.section	.bss,"aw",@nobits
	.globl	__hip_cuid_7b01be45f6772b2b
__hip_cuid_7b01be45f6772b2b:
	.byte	0                               ; 0x0
	.size	__hip_cuid_7b01be45f6772b2b, 1

	.ident	"AMD clang version 19.0.0git (https://github.com/RadeonOpenCompute/llvm-project roc-6.4.0 25133 c7fe45cf4b819c5991fe208aaa96edf142730f1d)"
	.section	".note.GNU-stack","",@progbits
	.addrsig
	.addrsig_sym __hip_cuid_7b01be45f6772b2b
	.amdgpu_metadata
---
amdhsa.kernels:
  - .args:
      - .actual_access:  read_only
        .address_space:  global
        .offset:         0
        .size:           8
        .value_kind:     global_buffer
      - .offset:         8
        .size:           8
        .value_kind:     by_value
      - .actual_access:  read_only
        .address_space:  global
        .offset:         16
        .size:           8
        .value_kind:     global_buffer
      - .actual_access:  read_only
        .address_space:  global
        .offset:         24
        .size:           8
        .value_kind:     global_buffer
      - .actual_access:  read_only
        .address_space:  global
        .offset:         32
        .size:           8
        .value_kind:     global_buffer
      - .offset:         40
        .size:           8
        .value_kind:     by_value
      - .actual_access:  read_only
        .address_space:  global
        .offset:         48
        .size:           8
        .value_kind:     global_buffer
      - .actual_access:  read_only
        .address_space:  global
        .offset:         56
        .size:           8
        .value_kind:     global_buffer
      - .offset:         64
        .size:           4
        .value_kind:     by_value
      - .actual_access:  read_only
        .address_space:  global
        .offset:         72
        .size:           8
        .value_kind:     global_buffer
      - .actual_access:  read_only
        .address_space:  global
        .offset:         80
        .size:           8
        .value_kind:     global_buffer
      - .actual_access:  read_only
        .address_space:  global
        .offset:         88
        .size:           8
        .value_kind:     global_buffer
      - .actual_access:  write_only
        .address_space:  global
        .offset:         96
        .size:           8
        .value_kind:     global_buffer
    .group_segment_fixed_size: 0
    .kernarg_segment_align: 8
    .kernarg_segment_size: 104
    .language:       OpenCL C
    .language_version:
      - 2
      - 0
    .max_flat_workgroup_size: 216
    .name:           fft_rtc_fwd_len540_factors_3_10_6_3_wgs_216_tpt_54_halfLds_sp_op_CI_CI_sbrr_dirReg
    .private_segment_fixed_size: 0
    .sgpr_count:     36
    .sgpr_spill_count: 0
    .symbol:         fft_rtc_fwd_len540_factors_3_10_6_3_wgs_216_tpt_54_halfLds_sp_op_CI_CI_sbrr_dirReg.kd
    .uniform_work_group_size: 1
    .uses_dynamic_stack: false
    .vgpr_count:     59
    .vgpr_spill_count: 0
    .wavefront_size: 64
amdhsa.target:   amdgcn-amd-amdhsa--gfx906
amdhsa.version:
  - 1
  - 2
...

	.end_amdgpu_metadata
